;; amdgpu-corpus repo=zjin-lcf/HeCBench kind=compiled arch=gfx90a opt=O3
	.text
	.amdgcn_target "amdgcn-amd-amdhsa--gfx90a"
	.amdhsa_code_object_version 6
	.protected	_Z9compute_fiPKfS0_Pf   ; -- Begin function _Z9compute_fiPKfS0_Pf
	.globl	_Z9compute_fiPKfS0_Pf
	.p2align	8
	.type	_Z9compute_fiPKfS0_Pf,@function
_Z9compute_fiPKfS0_Pf:                  ; @_Z9compute_fiPKfS0_Pf
; %bb.0:
	s_load_dword s0, s[4:5], 0x2c
	s_load_dword s1, s[4:5], 0x0
	s_waitcnt lgkmcnt(0)
	s_and_b32 s0, s0, 0xffff
	s_mul_i32 s6, s6, s0
	v_add_u32_e32 v0, s6, v0
	v_cmp_gt_i32_e32 vcc, s1, v0
	s_and_saveexec_b64 s[0:1], vcc
	s_cbranch_execz .LBB0_2
; %bb.1:
	s_load_dwordx4 s[8:11], s[4:5], 0x8
	s_load_dwordx2 s[2:3], s[4:5], 0x18
	v_ashrrev_i32_e32 v1, 31, v0
	v_lshlrev_b64 v[0:1], 2, v[0:1]
	v_mov_b32_e32 v5, 0x4016cbe4
	s_waitcnt lgkmcnt(0)
	v_mov_b32_e32 v3, s11
	v_add_co_u32_e32 v2, vcc, s10, v0
	v_addc_co_u32_e32 v3, vcc, v3, v1, vcc
	global_load_dword v4, v[2:3], off
	v_mov_b32_e32 v3, s9
	v_add_co_u32_e32 v2, vcc, s8, v0
	v_addc_co_u32_e32 v3, vcc, v3, v1, vcc
	global_load_dword v2, v[2:3], off
	v_mov_b32_e32 v3, 0x3e4ccccd
	v_mov_b32_e32 v6, 0x3f490fdb
	;; [unrolled: 1-line block ×28, first 2 shown]
	s_waitcnt vmcnt(1)
	v_cmp_eq_f32_e32 vcc, 0, v4
	s_waitcnt vmcnt(0)
	v_cmp_eq_f32_e64 s[0:1], 0, v2
	s_and_b64 vcc, vcc, s[0:1]
	v_cndmask_b32_e32 v33, v2, v3, vcc
	v_cndmask_b32_e64 v2, |v2|, v3, vcc
	v_sub_f32_e64 v3, v2, |v4|
	v_add_f32_e64 v2, |v4|, v2
	v_div_scale_f32 v34, s[0:1], v2, v2, v3
	v_rcp_f32_e32 v35, v34
	v_cmp_le_f32_e32 vcc, 0, v33
	v_cndmask_b32_e32 v5, v5, v6, vcc
	v_div_scale_f32 v6, vcc, v3, v2, v3
	v_fma_f32 v36, -v34, v35, 1.0
	v_fmac_f32_e32 v35, v36, v35
	v_mul_f32_e32 v36, v6, v35
	v_fma_f32 v37, -v34, v36, v6
	v_fmac_f32_e32 v36, v37, v35
	v_fma_f32 v6, -v34, v36, v6
	v_div_fmas_f32 v6, v6, v35, v36
	v_div_fixup_f32 v2, v6, v2, v3
	v_cmp_gt_f32_e32 vcc, 0, v33
	v_cndmask_b32_e64 v2, v2, -v2, vcc
	v_mul_f32_e32 v3, v2, v2
	v_fmac_f32_e32 v7, 0x3e448e00, v3
	v_fmac_f32_e32 v8, 0xbda27c92, v3
	;; [unrolled: 1-line block ×6, first 2 shown]
	v_fma_f32 v6, v2, v7, v5
	v_fmac_f32_e32 v9, v3, v8
	v_fmac_f32_e32 v11, v3, v10
	;; [unrolled: 1-line block ×5, first 2 shown]
	v_cmp_gt_f32_e32 vcc, 0, v4
	v_cndmask_b32_e64 v4, v6, -v6, vcc
	v_fma_f32 v6, v2, v9, v5
	v_fmac_f32_e32 v12, v3, v11
	v_fmac_f32_e32 v15, v3, v14
	;; [unrolled: 1-line block ×4, first 2 shown]
	v_cndmask_b32_e64 v6, v6, -v6, vcc
	v_fma_f32 v7, v2, v12, v5
	v_fmac_f32_e32 v16, v3, v15
	v_fmac_f32_e32 v20, v3, v19
	;; [unrolled: 1-line block ×4, first 2 shown]
	v_add_f32_e32 v4, v4, v6
	v_cndmask_b32_e64 v6, v7, -v7, vcc
	v_fma_f32 v7, v2, v16, v5
	v_fmac_f32_e32 v21, v3, v20
	v_fmac_f32_e32 v26, v3, v25
	;; [unrolled: 1-line block ×3, first 2 shown]
	v_add_f32_e32 v4, v4, v6
	v_cndmask_b32_e64 v6, v7, -v7, vcc
	v_fma_f32 v7, v2, v21, v5
	v_fmac_f32_e32 v27, v3, v26
	v_fmac_f32_e32 v30, v3, v29
	v_add_f32_e32 v4, v4, v6
	v_cndmask_b32_e64 v6, v7, -v7, vcc
	v_fma_f32 v7, v2, v27, v5
	v_fmac_f32_e32 v31, v3, v30
	v_add_f32_e32 v4, v4, v6
	v_cndmask_b32_e64 v6, v7, -v7, vcc
	v_fmac_f32_e32 v32, v3, v31
	v_add_f32_e32 v4, v4, v6
	v_mov_b32_e32 v6, 0x3eaaa5f2
	v_fmac_f32_e32 v6, v3, v32
	v_mov_b32_e32 v7, 0xbf7ffff4
	v_fmac_f32_e32 v7, v3, v6
	v_fmac_f32_e32 v5, v2, v7
	v_cndmask_b32_e64 v2, v5, -v5, vcc
	v_mov_b32_e32 v3, s3
	v_add_co_u32_e32 v0, vcc, s2, v0
	v_add_f32_e32 v2, v4, v2
	v_addc_co_u32_e32 v1, vcc, v3, v1, vcc
	global_store_dword v[0:1], v2, off
.LBB0_2:
	s_endpgm
	.section	.rodata,"a",@progbits
	.p2align	6, 0x0
	.amdhsa_kernel _Z9compute_fiPKfS0_Pf
		.amdhsa_group_segment_fixed_size 0
		.amdhsa_private_segment_fixed_size 0
		.amdhsa_kernarg_size 288
		.amdhsa_user_sgpr_count 6
		.amdhsa_user_sgpr_private_segment_buffer 1
		.amdhsa_user_sgpr_dispatch_ptr 0
		.amdhsa_user_sgpr_queue_ptr 0
		.amdhsa_user_sgpr_kernarg_segment_ptr 1
		.amdhsa_user_sgpr_dispatch_id 0
		.amdhsa_user_sgpr_flat_scratch_init 0
		.amdhsa_user_sgpr_kernarg_preload_length 0
		.amdhsa_user_sgpr_kernarg_preload_offset 0
		.amdhsa_user_sgpr_private_segment_size 0
		.amdhsa_uses_dynamic_stack 0
		.amdhsa_system_sgpr_private_segment_wavefront_offset 0
		.amdhsa_system_sgpr_workgroup_id_x 1
		.amdhsa_system_sgpr_workgroup_id_y 0
		.amdhsa_system_sgpr_workgroup_id_z 0
		.amdhsa_system_sgpr_workgroup_info 0
		.amdhsa_system_vgpr_workitem_id 0
		.amdhsa_next_free_vgpr 38
		.amdhsa_next_free_sgpr 12
		.amdhsa_accum_offset 40
		.amdhsa_reserve_vcc 1
		.amdhsa_reserve_flat_scratch 0
		.amdhsa_float_round_mode_32 0
		.amdhsa_float_round_mode_16_64 0
		.amdhsa_float_denorm_mode_32 3
		.amdhsa_float_denorm_mode_16_64 3
		.amdhsa_dx10_clamp 1
		.amdhsa_ieee_mode 1
		.amdhsa_fp16_overflow 0
		.amdhsa_tg_split 0
		.amdhsa_exception_fp_ieee_invalid_op 0
		.amdhsa_exception_fp_denorm_src 0
		.amdhsa_exception_fp_ieee_div_zero 0
		.amdhsa_exception_fp_ieee_overflow 0
		.amdhsa_exception_fp_ieee_underflow 0
		.amdhsa_exception_fp_ieee_inexact 0
		.amdhsa_exception_int_div_zero 0
	.end_amdhsa_kernel
	.text
.Lfunc_end0:
	.size	_Z9compute_fiPKfS0_Pf, .Lfunc_end0-_Z9compute_fiPKfS0_Pf
                                        ; -- End function
	.section	.AMDGPU.csdata,"",@progbits
; Kernel info:
; codeLenInByte = 816
; NumSgprs: 16
; NumVgprs: 38
; NumAgprs: 0
; TotalNumVgprs: 38
; ScratchSize: 0
; MemoryBound: 0
; FloatMode: 240
; IeeeMode: 1
; LDSByteSize: 0 bytes/workgroup (compile time only)
; SGPRBlocks: 1
; VGPRBlocks: 4
; NumSGPRsForWavesPerEU: 16
; NumVGPRsForWavesPerEU: 38
; AccumOffset: 40
; Occupancy: 8
; WaveLimiterHint : 0
; COMPUTE_PGM_RSRC2:SCRATCH_EN: 0
; COMPUTE_PGM_RSRC2:USER_SGPR: 6
; COMPUTE_PGM_RSRC2:TRAP_HANDLER: 0
; COMPUTE_PGM_RSRC2:TGID_X_EN: 1
; COMPUTE_PGM_RSRC2:TGID_Y_EN: 0
; COMPUTE_PGM_RSRC2:TGID_Z_EN: 0
; COMPUTE_PGM_RSRC2:TIDIG_COMP_CNT: 0
; COMPUTE_PGM_RSRC3_GFX90A:ACCUM_OFFSET: 9
; COMPUTE_PGM_RSRC3_GFX90A:TG_SPLIT: 0
	.text
	.protected	_Z9compute_siPKfS0_Ps   ; -- Begin function _Z9compute_siPKfS0_Ps
	.globl	_Z9compute_siPKfS0_Ps
	.p2align	8
	.type	_Z9compute_siPKfS0_Ps,@function
_Z9compute_siPKfS0_Ps:                  ; @_Z9compute_siPKfS0_Ps
; %bb.0:
	s_load_dword s0, s[4:5], 0x2c
	s_load_dword s1, s[4:5], 0x0
	s_waitcnt lgkmcnt(0)
	s_and_b32 s0, s0, 0xffff
	s_mul_i32 s6, s6, s0
	v_add_u32_e32 v0, s6, v0
	v_cmp_gt_i32_e32 vcc, s1, v0
	s_and_saveexec_b64 s[0:1], vcc
	s_cbranch_execz .LBB1_2
; %bb.1:
	s_load_dwordx4 s[8:11], s[4:5], 0x8
	s_load_dwordx2 s[0:1], s[4:5], 0x18
	v_ashrrev_i32_e32 v1, 31, v0
	v_lshlrev_b64 v[2:3], 2, v[0:1]
	v_mov_b32_e32 v6, 0x2000
	s_waitcnt lgkmcnt(0)
	v_mov_b32_e32 v5, s11
	v_add_co_u32_e32 v4, vcc, s10, v2
	v_addc_co_u32_e32 v5, vcc, v5, v3, vcc
	global_load_dword v4, v[4:5], off
	v_mov_b32_e32 v5, s9
	v_add_co_u32_e32 v2, vcc, s8, v2
	v_addc_co_u32_e32 v3, vcc, v5, v3, vcc
	global_load_dword v2, v[2:3], off
	v_mov_b32_e32 v5, 0x6000
	v_mov_b32_e32 v7, 0x453c326c
	;; [unrolled: 1-line block ×11, first 2 shown]
	v_lshlrev_b64 v[0:1], 1, v[0:1]
	v_mov_b32_e32 v16, s1
	s_waitcnt vmcnt(0)
	v_sub_f32_e64 v17, |v2|, |v4|
	v_add_f32_e64 v18, |v4|, |v2|
	v_div_scale_f32 v19, s[2:3], v18, v18, v17
	v_rcp_f32_e32 v20, v19
	v_cmp_le_f32_e32 vcc, 0, v2
	v_cndmask_b32_e32 v5, v5, v6, vcc
	v_div_scale_f32 v6, vcc, v17, v18, v17
	v_fma_f32 v21, -v19, v20, 1.0
	v_fmac_f32_e32 v20, v21, v20
	v_mul_f32_e32 v21, v6, v20
	v_fma_f32 v22, -v19, v21, v6
	v_fmac_f32_e32 v21, v22, v20
	v_fma_f32 v6, -v19, v21, v6
	v_div_fmas_f32 v6, v6, v20, v21
	v_div_fixup_f32 v6, v6, v18, v17
	v_cmp_gt_f32_e32 vcc, 0, v2
	v_cndmask_b32_e64 v2, v6, -v6, vcc
	v_mul_f32_e32 v6, v2, v2
	v_fmac_f32_e32 v7, 0xc44ee274, v6
	v_fmac_f32_e32 v9, 0x43cb522a, v6
	v_fmac_f32_e32 v12, 0xc3596d3c, v6
	v_fmac_f32_e32 v3, 0x44fa42e8, v6
	v_fmac_f32_e32 v8, v6, v7
	v_fmac_f32_e32 v10, v6, v9
	v_fmac_f32_e32 v13, v6, v12
	v_mul_f32_e32 v3, v2, v3
	v_mul_f32_e32 v7, v2, v8
	v_fmac_f32_e32 v11, v6, v10
	v_fmac_f32_e32 v14, v6, v13
	v_cvt_i32_f32_e32 v3, v3
	v_cvt_i32_f32_e32 v7, v7
	v_mul_f32_e32 v8, v2, v11
	v_fmac_f32_e32 v15, v6, v14
	v_cvt_i32_f32_e32 v6, v8
	v_mul_f32_e32 v2, v2, v15
	v_cvt_i32_f32_e32 v2, v2
	v_add_u16_e32 v3, v5, v3
	v_add_u16_e32 v7, v5, v7
	v_sub_u16_e32 v8, 0, v3
	v_cmp_gt_f32_e32 vcc, 0, v4
	v_sub_u16_e32 v4, 0, v7
	v_add_u16_e32 v6, v5, v6
	v_cndmask_b32_e32 v3, v3, v8, vcc
	v_cndmask_b32_e32 v4, v7, v4, vcc
	v_sub_u16_e32 v7, 0, v6
	v_add_u16_e32 v2, v5, v2
	v_add_u16_e32 v3, v4, v3
	v_cndmask_b32_e32 v4, v6, v7, vcc
	v_sub_u16_e32 v5, 0, v2
	v_add_u16_e32 v3, v3, v4
	v_cndmask_b32_e32 v2, v2, v5, vcc
	v_add_co_u32_e32 v0, vcc, s0, v0
	v_add_u16_e32 v2, v3, v2
	v_addc_co_u32_e32 v1, vcc, v16, v1, vcc
	global_store_short v[0:1], v2, off
.LBB1_2:
	s_endpgm
	.section	.rodata,"a",@progbits
	.p2align	6, 0x0
	.amdhsa_kernel _Z9compute_siPKfS0_Ps
		.amdhsa_group_segment_fixed_size 0
		.amdhsa_private_segment_fixed_size 0
		.amdhsa_kernarg_size 288
		.amdhsa_user_sgpr_count 6
		.amdhsa_user_sgpr_private_segment_buffer 1
		.amdhsa_user_sgpr_dispatch_ptr 0
		.amdhsa_user_sgpr_queue_ptr 0
		.amdhsa_user_sgpr_kernarg_segment_ptr 1
		.amdhsa_user_sgpr_dispatch_id 0
		.amdhsa_user_sgpr_flat_scratch_init 0
		.amdhsa_user_sgpr_kernarg_preload_length 0
		.amdhsa_user_sgpr_kernarg_preload_offset 0
		.amdhsa_user_sgpr_private_segment_size 0
		.amdhsa_uses_dynamic_stack 0
		.amdhsa_system_sgpr_private_segment_wavefront_offset 0
		.amdhsa_system_sgpr_workgroup_id_x 1
		.amdhsa_system_sgpr_workgroup_id_y 0
		.amdhsa_system_sgpr_workgroup_id_z 0
		.amdhsa_system_sgpr_workgroup_info 0
		.amdhsa_system_vgpr_workitem_id 0
		.amdhsa_next_free_vgpr 23
		.amdhsa_next_free_sgpr 12
		.amdhsa_accum_offset 24
		.amdhsa_reserve_vcc 1
		.amdhsa_reserve_flat_scratch 0
		.amdhsa_float_round_mode_32 0
		.amdhsa_float_round_mode_16_64 0
		.amdhsa_float_denorm_mode_32 3
		.amdhsa_float_denorm_mode_16_64 3
		.amdhsa_dx10_clamp 1
		.amdhsa_ieee_mode 1
		.amdhsa_fp16_overflow 0
		.amdhsa_tg_split 0
		.amdhsa_exception_fp_ieee_invalid_op 0
		.amdhsa_exception_fp_denorm_src 0
		.amdhsa_exception_fp_ieee_div_zero 0
		.amdhsa_exception_fp_ieee_overflow 0
		.amdhsa_exception_fp_ieee_underflow 0
		.amdhsa_exception_fp_ieee_inexact 0
		.amdhsa_exception_int_div_zero 0
	.end_amdhsa_kernel
	.text
.Lfunc_end1:
	.size	_Z9compute_siPKfS0_Ps, .Lfunc_end1-_Z9compute_siPKfS0_Ps
                                        ; -- End function
	.section	.AMDGPU.csdata,"",@progbits
; Kernel info:
; codeLenInByte = 516
; NumSgprs: 16
; NumVgprs: 23
; NumAgprs: 0
; TotalNumVgprs: 23
; ScratchSize: 0
; MemoryBound: 0
; FloatMode: 240
; IeeeMode: 1
; LDSByteSize: 0 bytes/workgroup (compile time only)
; SGPRBlocks: 1
; VGPRBlocks: 2
; NumSGPRsForWavesPerEU: 16
; NumVGPRsForWavesPerEU: 23
; AccumOffset: 24
; Occupancy: 8
; WaveLimiterHint : 0
; COMPUTE_PGM_RSRC2:SCRATCH_EN: 0
; COMPUTE_PGM_RSRC2:USER_SGPR: 6
; COMPUTE_PGM_RSRC2:TRAP_HANDLER: 0
; COMPUTE_PGM_RSRC2:TGID_X_EN: 1
; COMPUTE_PGM_RSRC2:TGID_Y_EN: 0
; COMPUTE_PGM_RSRC2:TGID_Z_EN: 0
; COMPUTE_PGM_RSRC2:TIDIG_COMP_CNT: 0
; COMPUTE_PGM_RSRC3_GFX90A:ACCUM_OFFSET: 5
; COMPUTE_PGM_RSRC3_GFX90A:TG_SPLIT: 0
	.text
	.protected	_Z9compute_iiPKfS0_Pi   ; -- Begin function _Z9compute_iiPKfS0_Pi
	.globl	_Z9compute_iiPKfS0_Pi
	.p2align	8
	.type	_Z9compute_iiPKfS0_Pi,@function
_Z9compute_iiPKfS0_Pi:                  ; @_Z9compute_iiPKfS0_Pi
; %bb.0:
	s_load_dword s0, s[4:5], 0x2c
	s_load_dword s1, s[4:5], 0x0
	s_waitcnt lgkmcnt(0)
	s_and_b32 s0, s0, 0xffff
	s_mul_i32 s6, s6, s0
	v_add_u32_e32 v0, s6, v0
	v_cmp_gt_i32_e32 vcc, s1, v0
	s_and_saveexec_b64 s[0:1], vcc
	s_cbranch_execz .LBB2_2
; %bb.1:
	s_load_dwordx4 s[8:11], s[4:5], 0x8
	s_load_dwordx2 s[0:1], s[4:5], 0x18
	v_ashrrev_i32_e32 v1, 31, v0
	v_lshlrev_b64 v[0:1], 2, v[0:1]
	v_bfrev_b32_e32 v5, 4
	s_waitcnt lgkmcnt(0)
	v_mov_b32_e32 v3, s11
	v_add_co_u32_e32 v2, vcc, s10, v0
	v_addc_co_u32_e32 v3, vcc, v3, v1, vcc
	global_load_dword v4, v[2:3], off
	v_mov_b32_e32 v3, s9
	v_add_co_u32_e32 v2, vcc, s8, v0
	v_addc_co_u32_e32 v3, vcc, v3, v1, vcc
	global_load_dword v2, v[2:3], off
	v_bfrev_b32_e32 v3, 6
	v_mov_b32_e32 v6, 0xce1e79c2
	v_mov_b32_e32 v7, 0x4d3c3252
	;; [unrolled: 1-line block ×22, first 2 shown]
	s_waitcnt vmcnt(0)
	v_sub_f32_e64 v28, |v2|, |v4|
	v_add_f32_e64 v29, |v4|, |v2|
	v_div_scale_f32 v30, s[2:3], v29, v29, v28
	v_rcp_f32_e32 v31, v30
	v_cmp_le_f32_e32 vcc, 0, v2
	v_cndmask_b32_e32 v3, v3, v5, vcc
	v_div_scale_f32 v5, vcc, v28, v29, v28
	v_fma_f32 v32, -v30, v31, 1.0
	v_fmac_f32_e32 v31, v32, v31
	v_mul_f32_e32 v32, v5, v31
	v_fma_f32 v33, -v30, v32, v5
	v_fmac_f32_e32 v32, v33, v31
	v_fma_f32 v5, -v30, v32, v5
	v_div_fmas_f32 v5, v5, v31, v32
	v_div_fixup_f32 v5, v5, v29, v28
	v_cmp_gt_f32_e32 vcc, 0, v2
	v_cndmask_b32_e64 v2, v5, -v5, vcc
	v_mul_f32_e32 v5, v2, v2
	v_fmac_f32_e32 v6, 0x4cfa42e8, v5
	v_fmac_f32_e32 v7, 0xcc4ee22a, v5
	;; [unrolled: 1-line block ×6, first 2 shown]
	v_mul_f32_e32 v6, v2, v6
	v_fmac_f32_e32 v8, v5, v7
	v_fmac_f32_e32 v10, v5, v9
	;; [unrolled: 1-line block ×5, first 2 shown]
	v_cvt_i32_f32_e32 v6, v6
	v_mul_f32_e32 v7, v2, v8
	v_fmac_f32_e32 v11, v5, v10
	v_fmac_f32_e32 v14, v5, v13
	;; [unrolled: 1-line block ×4, first 2 shown]
	v_cvt_i32_f32_e32 v7, v7
	v_mul_f32_e32 v8, v2, v11
	v_fmac_f32_e32 v15, v5, v14
	v_fmac_f32_e32 v24, v5, v23
	;; [unrolled: 1-line block ×3, first 2 shown]
	v_cvt_i32_f32_e32 v8, v8
	v_mul_f32_e32 v9, v2, v15
	v_fmac_f32_e32 v25, v5, v24
	v_fmac_f32_e32 v20, v5, v19
	v_cvt_i32_f32_e32 v9, v9
	v_fmac_f32_e32 v26, v5, v25
	v_mul_f32_e32 v10, v2, v20
	v_add_u32_e32 v5, v3, v6
	v_mul_f32_e32 v2, v2, v26
	v_cvt_i32_f32_e32 v6, v10
	v_sub_u32_e32 v10, 0, v5
	v_add_u32_e32 v7, v3, v7
	v_cvt_i32_f32_e32 v2, v2
	v_cmp_gt_f32_e32 vcc, 0, v4
	v_cndmask_b32_e32 v4, v5, v10, vcc
	v_sub_u32_e32 v5, 0, v7
	v_add_u32_e32 v8, v3, v8
	v_cndmask_b32_e32 v5, v7, v5, vcc
	v_sub_u32_e32 v7, 0, v8
	v_add_u32_e32 v9, v3, v9
	v_add_u32_e32 v4, v5, v4
	v_cndmask_b32_e32 v5, v8, v7, vcc
	v_sub_u32_e32 v7, 0, v9
	v_cndmask_b32_e32 v7, v9, v7, vcc
	v_add_u32_e32 v2, v3, v2
	v_add_u32_e32 v6, v3, v6
	v_add3_u32 v3, v4, v5, v7
	v_sub_u32_e32 v5, 0, v2
	v_sub_u32_e32 v8, 0, v6
	v_cndmask_b32_e32 v2, v2, v5, vcc
	v_cndmask_b32_e32 v4, v6, v8, vcc
	v_lshlrev_b32_e32 v2, 1, v2
	v_add_co_u32_e32 v0, vcc, s0, v0
	v_add3_u32 v2, v3, v4, v2
	v_addc_co_u32_e32 v1, vcc, v27, v1, vcc
	global_store_dword v[0:1], v2, off
.LBB2_2:
	s_endpgm
	.section	.rodata,"a",@progbits
	.p2align	6, 0x0
	.amdhsa_kernel _Z9compute_iiPKfS0_Pi
		.amdhsa_group_segment_fixed_size 0
		.amdhsa_private_segment_fixed_size 0
		.amdhsa_kernarg_size 288
		.amdhsa_user_sgpr_count 6
		.amdhsa_user_sgpr_private_segment_buffer 1
		.amdhsa_user_sgpr_dispatch_ptr 0
		.amdhsa_user_sgpr_queue_ptr 0
		.amdhsa_user_sgpr_kernarg_segment_ptr 1
		.amdhsa_user_sgpr_dispatch_id 0
		.amdhsa_user_sgpr_flat_scratch_init 0
		.amdhsa_user_sgpr_kernarg_preload_length 0
		.amdhsa_user_sgpr_kernarg_preload_offset 0
		.amdhsa_user_sgpr_private_segment_size 0
		.amdhsa_uses_dynamic_stack 0
		.amdhsa_system_sgpr_private_segment_wavefront_offset 0
		.amdhsa_system_sgpr_workgroup_id_x 1
		.amdhsa_system_sgpr_workgroup_id_y 0
		.amdhsa_system_sgpr_workgroup_id_z 0
		.amdhsa_system_sgpr_workgroup_info 0
		.amdhsa_system_vgpr_workitem_id 0
		.amdhsa_next_free_vgpr 34
		.amdhsa_next_free_sgpr 12
		.amdhsa_accum_offset 36
		.amdhsa_reserve_vcc 1
		.amdhsa_reserve_flat_scratch 0
		.amdhsa_float_round_mode_32 0
		.amdhsa_float_round_mode_16_64 0
		.amdhsa_float_denorm_mode_32 3
		.amdhsa_float_denorm_mode_16_64 3
		.amdhsa_dx10_clamp 1
		.amdhsa_ieee_mode 1
		.amdhsa_fp16_overflow 0
		.amdhsa_tg_split 0
		.amdhsa_exception_fp_ieee_invalid_op 0
		.amdhsa_exception_fp_denorm_src 0
		.amdhsa_exception_fp_ieee_div_zero 0
		.amdhsa_exception_fp_ieee_overflow 0
		.amdhsa_exception_fp_ieee_underflow 0
		.amdhsa_exception_fp_ieee_inexact 0
		.amdhsa_exception_int_div_zero 0
	.end_amdhsa_kernel
	.text
.Lfunc_end2:
	.size	_Z9compute_iiPKfS0_Pi, .Lfunc_end2-_Z9compute_iiPKfS0_Pi
                                        ; -- End function
	.section	.AMDGPU.csdata,"",@progbits
; Kernel info:
; codeLenInByte = 692
; NumSgprs: 16
; NumVgprs: 34
; NumAgprs: 0
; TotalNumVgprs: 34
; ScratchSize: 0
; MemoryBound: 0
; FloatMode: 240
; IeeeMode: 1
; LDSByteSize: 0 bytes/workgroup (compile time only)
; SGPRBlocks: 1
; VGPRBlocks: 4
; NumSGPRsForWavesPerEU: 16
; NumVGPRsForWavesPerEU: 34
; AccumOffset: 36
; Occupancy: 8
; WaveLimiterHint : 0
; COMPUTE_PGM_RSRC2:SCRATCH_EN: 0
; COMPUTE_PGM_RSRC2:USER_SGPR: 6
; COMPUTE_PGM_RSRC2:TRAP_HANDLER: 0
; COMPUTE_PGM_RSRC2:TGID_X_EN: 1
; COMPUTE_PGM_RSRC2:TGID_Y_EN: 0
; COMPUTE_PGM_RSRC2:TGID_Z_EN: 0
; COMPUTE_PGM_RSRC2:TIDIG_COMP_CNT: 0
; COMPUTE_PGM_RSRC3_GFX90A:ACCUM_OFFSET: 8
; COMPUTE_PGM_RSRC3_GFX90A:TG_SPLIT: 0
	.text
	.p2alignl 6, 3212836864
	.fill 256, 4, 3212836864
	.type	__hip_cuid_f1d9f7da23feb810,@object ; @__hip_cuid_f1d9f7da23feb810
	.section	.bss,"aw",@nobits
	.globl	__hip_cuid_f1d9f7da23feb810
__hip_cuid_f1d9f7da23feb810:
	.byte	0                               ; 0x0
	.size	__hip_cuid_f1d9f7da23feb810, 1

	.ident	"AMD clang version 19.0.0git (https://github.com/RadeonOpenCompute/llvm-project roc-6.4.0 25133 c7fe45cf4b819c5991fe208aaa96edf142730f1d)"
	.section	".note.GNU-stack","",@progbits
	.addrsig
	.addrsig_sym __hip_cuid_f1d9f7da23feb810
	.amdgpu_metadata
---
amdhsa.kernels:
  - .agpr_count:     0
    .args:
      - .offset:         0
        .size:           4
        .value_kind:     by_value
      - .address_space:  global
        .offset:         8
        .size:           8
        .value_kind:     global_buffer
      - .address_space:  global
        .offset:         16
        .size:           8
        .value_kind:     global_buffer
      - .address_space:  global
        .offset:         24
        .size:           8
        .value_kind:     global_buffer
      - .offset:         32
        .size:           4
        .value_kind:     hidden_block_count_x
      - .offset:         36
        .size:           4
        .value_kind:     hidden_block_count_y
      - .offset:         40
        .size:           4
        .value_kind:     hidden_block_count_z
      - .offset:         44
        .size:           2
        .value_kind:     hidden_group_size_x
      - .offset:         46
        .size:           2
        .value_kind:     hidden_group_size_y
      - .offset:         48
        .size:           2
        .value_kind:     hidden_group_size_z
      - .offset:         50
        .size:           2
        .value_kind:     hidden_remainder_x
      - .offset:         52
        .size:           2
        .value_kind:     hidden_remainder_y
      - .offset:         54
        .size:           2
        .value_kind:     hidden_remainder_z
      - .offset:         72
        .size:           8
        .value_kind:     hidden_global_offset_x
      - .offset:         80
        .size:           8
        .value_kind:     hidden_global_offset_y
      - .offset:         88
        .size:           8
        .value_kind:     hidden_global_offset_z
      - .offset:         96
        .size:           2
        .value_kind:     hidden_grid_dims
    .group_segment_fixed_size: 0
    .kernarg_segment_align: 8
    .kernarg_segment_size: 288
    .language:       OpenCL C
    .language_version:
      - 2
      - 0
    .max_flat_workgroup_size: 1024
    .name:           _Z9compute_fiPKfS0_Pf
    .private_segment_fixed_size: 0
    .sgpr_count:     16
    .sgpr_spill_count: 0
    .symbol:         _Z9compute_fiPKfS0_Pf.kd
    .uniform_work_group_size: 1
    .uses_dynamic_stack: false
    .vgpr_count:     38
    .vgpr_spill_count: 0
    .wavefront_size: 64
  - .agpr_count:     0
    .args:
      - .offset:         0
        .size:           4
        .value_kind:     by_value
      - .address_space:  global
        .offset:         8
        .size:           8
        .value_kind:     global_buffer
      - .address_space:  global
        .offset:         16
        .size:           8
        .value_kind:     global_buffer
      - .address_space:  global
        .offset:         24
        .size:           8
        .value_kind:     global_buffer
      - .offset:         32
        .size:           4
        .value_kind:     hidden_block_count_x
      - .offset:         36
        .size:           4
        .value_kind:     hidden_block_count_y
      - .offset:         40
        .size:           4
        .value_kind:     hidden_block_count_z
      - .offset:         44
        .size:           2
        .value_kind:     hidden_group_size_x
      - .offset:         46
        .size:           2
        .value_kind:     hidden_group_size_y
      - .offset:         48
        .size:           2
        .value_kind:     hidden_group_size_z
      - .offset:         50
        .size:           2
        .value_kind:     hidden_remainder_x
      - .offset:         52
        .size:           2
        .value_kind:     hidden_remainder_y
      - .offset:         54
        .size:           2
        .value_kind:     hidden_remainder_z
      - .offset:         72
        .size:           8
        .value_kind:     hidden_global_offset_x
      - .offset:         80
        .size:           8
        .value_kind:     hidden_global_offset_y
      - .offset:         88
        .size:           8
        .value_kind:     hidden_global_offset_z
      - .offset:         96
        .size:           2
        .value_kind:     hidden_grid_dims
    .group_segment_fixed_size: 0
    .kernarg_segment_align: 8
    .kernarg_segment_size: 288
    .language:       OpenCL C
    .language_version:
      - 2
      - 0
    .max_flat_workgroup_size: 1024
    .name:           _Z9compute_siPKfS0_Ps
    .private_segment_fixed_size: 0
    .sgpr_count:     16
    .sgpr_spill_count: 0
    .symbol:         _Z9compute_siPKfS0_Ps.kd
    .uniform_work_group_size: 1
    .uses_dynamic_stack: false
    .vgpr_count:     23
    .vgpr_spill_count: 0
    .wavefront_size: 64
  - .agpr_count:     0
    .args:
      - .offset:         0
        .size:           4
        .value_kind:     by_value
      - .address_space:  global
        .offset:         8
        .size:           8
        .value_kind:     global_buffer
      - .address_space:  global
        .offset:         16
        .size:           8
        .value_kind:     global_buffer
      - .address_space:  global
        .offset:         24
        .size:           8
        .value_kind:     global_buffer
      - .offset:         32
        .size:           4
        .value_kind:     hidden_block_count_x
      - .offset:         36
        .size:           4
        .value_kind:     hidden_block_count_y
      - .offset:         40
        .size:           4
        .value_kind:     hidden_block_count_z
      - .offset:         44
        .size:           2
        .value_kind:     hidden_group_size_x
      - .offset:         46
        .size:           2
        .value_kind:     hidden_group_size_y
      - .offset:         48
        .size:           2
        .value_kind:     hidden_group_size_z
      - .offset:         50
        .size:           2
        .value_kind:     hidden_remainder_x
      - .offset:         52
        .size:           2
        .value_kind:     hidden_remainder_y
      - .offset:         54
        .size:           2
        .value_kind:     hidden_remainder_z
      - .offset:         72
        .size:           8
        .value_kind:     hidden_global_offset_x
      - .offset:         80
        .size:           8
        .value_kind:     hidden_global_offset_y
      - .offset:         88
        .size:           8
        .value_kind:     hidden_global_offset_z
      - .offset:         96
        .size:           2
        .value_kind:     hidden_grid_dims
    .group_segment_fixed_size: 0
    .kernarg_segment_align: 8
    .kernarg_segment_size: 288
    .language:       OpenCL C
    .language_version:
      - 2
      - 0
    .max_flat_workgroup_size: 1024
    .name:           _Z9compute_iiPKfS0_Pi
    .private_segment_fixed_size: 0
    .sgpr_count:     16
    .sgpr_spill_count: 0
    .symbol:         _Z9compute_iiPKfS0_Pi.kd
    .uniform_work_group_size: 1
    .uses_dynamic_stack: false
    .vgpr_count:     34
    .vgpr_spill_count: 0
    .wavefront_size: 64
amdhsa.target:   amdgcn-amd-amdhsa--gfx90a
amdhsa.version:
  - 1
  - 2
...

	.end_amdgpu_metadata
